;; amdgpu-corpus repo=tuanlda78202/gpt-oss-amd kind=compiled arch=gfx90a opt=O3
	.text
	.amdgcn_target "amdgcn-amd-amdhsa--gfx90a"
	.amdhsa_code_object_version 6
	.section	.text._Z16split_qkv_kernelILi4EEvPKfPfPvS3_iiiiiPKiiS5_xiiPKxS5_S5_,"axG",@progbits,_Z16split_qkv_kernelILi4EEvPKfPfPvS3_iiiiiPKiiS5_xiiPKxS5_S5_,comdat
	.protected	_Z16split_qkv_kernelILi4EEvPKfPfPvS3_iiiiiPKiiS5_xiiPKxS5_S5_ ; -- Begin function _Z16split_qkv_kernelILi4EEvPKfPfPvS3_iiiiiPKiiS5_xiiPKxS5_S5_
	.globl	_Z16split_qkv_kernelILi4EEvPKfPfPvS3_iiiiiPKiiS5_xiiPKxS5_S5_
	.p2align	8
	.type	_Z16split_qkv_kernelILi4EEvPKfPfPvS3_iiiiiPKiiS5_xiiPKxS5_S5_,@function
_Z16split_qkv_kernelILi4EEvPKfPfPvS3_iiiiiPKiiS5_xiiPKxS5_S5_: ; @_Z16split_qkv_kernelILi4EEvPKfPfPvS3_iiiiiPKiiS5_xiiPKxS5_S5_
; %bb.0:
	s_load_dwordx4 s[0:3], s[4:5], 0x20
	s_waitcnt lgkmcnt(0)
	s_cmp_ge_i32 s7, s0
	s_cbranch_scc1 .LBB0_57
; %bb.1:
	s_load_dwordx2 s[14:15], s[4:5], 0x0
	s_load_dword s12, s[4:5], 0x30
	s_load_dwordx2 s[18:19], s[4:5], 0x70
	s_load_dwordx4 s[20:23], s[4:5], 0x60
	s_load_dwordx2 s[24:25], s[4:5], 0x48
	s_load_dwordx2 s[26:27], s[4:5], 0x38
	s_load_dword s16, s[4:5], 0x84
	s_waitcnt lgkmcnt(0)
	s_ashr_i32 s13, s12, 31
	s_lshl_b64 s[8:9], s[12:13], 3
	s_add_u32 s8, s20, s8
	s_addc_u32 s9, s21, s9
	s_lshl_b64 s[12:13], s[12:13], 2
	s_add_u32 s20, s22, s12
	s_addc_u32 s21, s23, s13
	s_mov_b32 s10, s7
	s_add_u32 s12, s18, s12
	s_addc_u32 s13, s19, s13
	s_ashr_i32 s11, s10, 31
	s_load_dword s0, s[12:13], 0x0
	s_lshl_b64 s[12:13], s[10:11], 2
	s_add_u32 s18, s26, s12
	s_addc_u32 s19, s27, s13
	s_load_dword s7, s[20:21], 0x0
	s_load_dword s11, s[18:19], 0x0
	s_add_u32 s12, s24, s12
	s_addc_u32 s13, s25, s13
	s_waitcnt lgkmcnt(0)
	s_cmp_eq_u32 s0, 0
	s_cbranch_scc1 .LBB0_3
; %bb.2:
	s_abs_i32 s0, s7
	v_cvt_f32_u32_e32 v1, s0
	s_sub_i32 s18, 0, s0
	s_ashr_i32 s17, s11, 31
	s_abs_i32 s11, s11
	v_rcp_iflag_f32_e32 v1, v1
	v_mul_f32_e32 v1, 0x4f7ffffe, v1
	v_cvt_u32_f32_e32 v1, v1
	v_readfirstlane_b32 s19, v1
	s_mul_i32 s18, s18, s19
	s_mul_hi_u32 s18, s19, s18
	s_add_i32 s19, s19, s18
	s_mul_hi_u32 s18, s11, s19
	s_mul_i32 s18, s18, s0
	s_sub_i32 s11, s11, s18
	s_sub_i32 s18, s11, s0
	s_cmp_ge_u32 s11, s0
	s_cselect_b32 s11, s18, s11
	s_sub_i32 s18, s11, s0
	s_cmp_ge_u32 s11, s0
	s_cselect_b32 s0, s18, s11
	s_xor_b32 s0, s0, s17
	s_sub_i32 s11, s0, s17
.LBB0_3:
	s_lshl_b32 s3, s3, 1
	s_mul_i32 s0, s2, s1
	s_add_i32 s2, s3, s2
	s_mul_i32 s1, s2, s1
	s_and_b32 s2, 0xffff, s16
	s_mul_i32 s6, s6, s2
	s_mul_hi_i32 s3, s1, s10
	s_mul_i32 s2, s1, s10
	v_add_u32_e32 v2, s6, v0
	s_lshl_b64 s[2:3], s[2:3], 2
	s_add_u32 s6, s14, s2
	v_lshlrev_b32_e32 v0, 2, v2
	s_addc_u32 s14, s15, s3
	s_ashr_i32 s1, s0, 31
	v_cmp_gt_i32_e32 vcc, s0, v0
	s_and_saveexec_b64 s[2:3], vcc
	s_cbranch_execz .LBB0_5
; %bb.4:
	v_ashrrev_i32_e32 v3, 31, v2
	v_lshlrev_b64 v[6:7], 4, v[2:3]
	v_mov_b32_e32 v1, s14
	v_add_co_u32_e32 v2, vcc, s6, v6
	v_addc_co_u32_e32 v3, vcc, v1, v7, vcc
	global_load_dwordx4 v[2:5], v[2:3], off
	s_load_dwordx2 s[16:17], s[4:5], 0x8
	s_mul_hi_i32 s19, s0, s10
	s_mul_i32 s18, s0, s10
	s_lshl_b64 s[18:19], s[18:19], 2
	s_waitcnt lgkmcnt(0)
	s_add_u32 s10, s16, s18
	s_addc_u32 s15, s17, s19
	v_mov_b32_e32 v1, s15
	v_add_co_u32_e32 v6, vcc, s10, v6
	v_addc_co_u32_e32 v7, vcc, v1, v7, vcc
	s_waitcnt vmcnt(0)
	global_store_dwordx4 v[6:7], v[2:5], off
.LBB0_5:
	s_or_b64 exec, exec, s[2:3]
	s_load_dwordx2 s[2:3], s[4:5], 0x58
	s_waitcnt lgkmcnt(0)
	v_cmp_gt_i32_e32 vcc, s2, v0
	s_and_saveexec_b64 s[16:17], vcc
	s_cbranch_execz .LBB0_57
; %bb.6:
	s_load_dwordx4 s[16:19], s[4:5], 0x10
	s_load_dwordx2 s[20:21], s[8:9], 0x0
	s_load_dword s10, s[12:13], 0x0
	s_cmp_lg_u32 s3, 0
	s_cselect_b64 s[4:5], -1, 0
	s_ashr_i32 s13, s2, 31
	s_mov_b32 s12, s2
	s_waitcnt lgkmcnt(0)
	s_mul_hi_i32 s8, s10, s7
	s_mul_i32 s10, s10, s7
	s_ashr_i32 s7, s11, 31
	s_add_u32 s9, s10, s11
	s_addc_u32 s7, s8, s7
	s_mul_i32 s8, s9, s13
	s_mul_hi_u32 s10, s9, s2
	s_add_i32 s8, s10, s8
	s_mul_i32 s7, s7, s2
	s_add_i32 s7, s8, s7
	s_mul_i32 s9, s9, s2
	s_add_u32 s8, s9, s20
	s_addc_u32 s9, s7, s21
	s_cmp_eq_u32 s3, 0
	s_cselect_b64 s[10:11], -1, 0
	s_and_b64 vcc, s[10:11], exec
	s_cselect_b32 s3, 2, 1
	s_lshl_b64 s[10:11], s[8:9], s3
	s_add_u32 s8, s16, s10
	s_addc_u32 s9, s17, s11
	s_add_u32 s3, s18, s10
	s_addc_u32 s10, s19, s11
	s_lshl_b64 s[0:1], s[0:1], 2
	s_add_u32 s6, s6, s0
	s_addc_u32 s7, s14, s1
	s_lshl_b64 s[0:1], s[12:13], 2
	v_ashrrev_i32_e32 v1, 31, v0
	s_add_u32 s11, s6, s0
	v_lshlrev_b64 v[2:3], 2, v[0:1]
	s_addc_u32 s12, s7, s1
	v_mov_b32_e32 v5, s7
	v_add_co_u32_e64 v4, s[0:1], s6, v2
	v_addc_co_u32_e64 v5, s[0:1], v5, v3, s[0:1]
	s_mov_b64 s[0:1], -1
	s_cbranch_vccnz .LBB0_16
; %bb.7:
	global_load_dword v6, v[4:5], off
	s_mov_b32 s0, 0x7f800000
                                        ; implicit-def: $vgpr8
	s_waitcnt vmcnt(0)
	v_and_b32_e32 v7, 0x7f800000, v6
	v_cmp_ne_u32_e32 vcc, s0, v7
	s_and_saveexec_b64 s[0:1], vcc
	s_xor_b64 s[0:1], exec, s[0:1]
; %bb.8:
	v_bfe_u32 v7, v6, 16, 1
	s_movk_i32 s6, 0x7fff
	v_add3_u32 v8, v6, v7, s6
                                        ; implicit-def: $vgpr6
; %bb.9:
	s_andn2_saveexec_b64 s[0:1], s[0:1]
; %bb.10:
	v_mov_b32_e32 v7, 0
	v_or_b32_e32 v8, 0x10000, v6
	v_cmp_eq_u32_sdwa vcc, v6, v7 src0_sel:WORD_0 src1_sel:DWORD
	v_cndmask_b32_e32 v8, v8, v6, vcc
; %bb.11:
	s_or_b64 exec, exec, s[0:1]
	v_mov_b32_e32 v7, s12
	v_add_co_u32_e32 v6, vcc, s11, v2
	v_addc_co_u32_e32 v7, vcc, v7, v3, vcc
	global_load_dword v9, v[6:7], off
	v_lshlrev_b64 v[6:7], 1, v[0:1]
	v_mov_b32_e32 v11, s9
	v_add_co_u32_e32 v10, vcc, s8, v6
	v_addc_co_u32_e32 v11, vcc, v11, v7, vcc
	global_store_short_d16_hi v[10:11], v8, off
	s_mov_b32 s0, 0x7f800000
	s_waitcnt vmcnt(1)
	v_and_b32_e32 v8, 0x7f800000, v9
	v_cmp_ne_u32_e32 vcc, s0, v8
                                        ; implicit-def: $vgpr8
	s_and_saveexec_b64 s[0:1], vcc
	s_xor_b64 s[0:1], exec, s[0:1]
; %bb.12:
	v_bfe_u32 v8, v9, 16, 1
	s_movk_i32 s6, 0x7fff
	v_add3_u32 v8, v9, v8, s6
                                        ; implicit-def: $vgpr9
; %bb.13:
	s_andn2_saveexec_b64 s[0:1], s[0:1]
; %bb.14:
	v_mov_b32_e32 v8, 0
	v_or_b32_e32 v10, 0x10000, v9
	v_cmp_eq_u32_sdwa vcc, v9, v8 src0_sel:WORD_0 src1_sel:DWORD
	v_cndmask_b32_e32 v8, v10, v9, vcc
; %bb.15:
	s_or_b64 exec, exec, s[0:1]
	v_mov_b32_e32 v9, s10
	v_add_co_u32_e32 v6, vcc, s3, v6
	v_addc_co_u32_e32 v7, vcc, v9, v7, vcc
	s_mov_b64 s[0:1], 0
	global_store_short_d16_hi v[6:7], v8, off
.LBB0_16:
	s_and_b64 vcc, exec, s[0:1]
	s_cbranch_vccz .LBB0_18
; %bb.17:
	global_load_dword v8, v[4:5], off
	v_mov_b32_e32 v7, s12
	v_add_co_u32_e32 v6, vcc, s11, v2
	v_addc_co_u32_e32 v7, vcc, v7, v3, vcc
	global_load_dword v9, v[6:7], off
	v_mov_b32_e32 v7, s9
	v_add_co_u32_e32 v6, vcc, s8, v2
	v_addc_co_u32_e32 v7, vcc, v7, v3, vcc
	v_mov_b32_e32 v10, s10
	s_waitcnt vmcnt(1)
	global_store_dword v[6:7], v8, off
	v_add_co_u32_e32 v6, vcc, s3, v2
	v_addc_co_u32_e32 v7, vcc, v10, v3, vcc
	s_waitcnt vmcnt(1)
	global_store_dword v[6:7], v9, off
.LBB0_18:
	v_or_b32_e32 v6, 1, v0
	v_cmp_gt_i32_e32 vcc, s2, v6
	v_cndmask_b32_e64 v6, 0, 1, s[4:5]
	v_cmp_ne_u32_e64 s[0:1], 1, v6
	s_and_saveexec_b64 s[4:5], vcc
	s_cbranch_execz .LBB0_31
; %bb.19:
	s_and_b64 vcc, exec, s[0:1]
	s_mov_b64 s[6:7], -1
	s_cbranch_vccnz .LBB0_29
; %bb.20:
	global_load_dword v6, v[4:5], off offset:4
	s_mov_b32 s6, 0x7f800000
                                        ; implicit-def: $vgpr8
	s_waitcnt vmcnt(0)
	v_and_b32_e32 v7, 0x7f800000, v6
	v_cmp_ne_u32_e32 vcc, s6, v7
	s_and_saveexec_b64 s[6:7], vcc
	s_xor_b64 s[6:7], exec, s[6:7]
; %bb.21:
	v_bfe_u32 v7, v6, 16, 1
	s_movk_i32 s13, 0x7fff
	v_add3_u32 v8, v6, v7, s13
                                        ; implicit-def: $vgpr6
; %bb.22:
	s_andn2_saveexec_b64 s[6:7], s[6:7]
; %bb.23:
	v_mov_b32_e32 v7, 0
	v_or_b32_e32 v8, 0x10000, v6
	v_cmp_eq_u32_sdwa vcc, v6, v7 src0_sel:WORD_0 src1_sel:DWORD
	v_cndmask_b32_e32 v8, v8, v6, vcc
; %bb.24:
	s_or_b64 exec, exec, s[6:7]
	v_mov_b32_e32 v7, s12
	v_add_co_u32_e32 v6, vcc, s11, v2
	v_addc_co_u32_e32 v7, vcc, v7, v3, vcc
	global_load_dword v9, v[6:7], off offset:4
	v_lshlrev_b64 v[6:7], 1, v[0:1]
	v_mov_b32_e32 v11, s9
	v_add_co_u32_e32 v10, vcc, s8, v6
	v_addc_co_u32_e32 v11, vcc, v11, v7, vcc
	global_store_short_d16_hi v[10:11], v8, off offset:2
	s_mov_b32 s6, 0x7f800000
	s_waitcnt vmcnt(1)
	v_and_b32_e32 v8, 0x7f800000, v9
	v_cmp_ne_u32_e32 vcc, s6, v8
                                        ; implicit-def: $vgpr8
	s_and_saveexec_b64 s[6:7], vcc
	s_xor_b64 s[6:7], exec, s[6:7]
; %bb.25:
	v_bfe_u32 v8, v9, 16, 1
	s_movk_i32 s13, 0x7fff
	v_add3_u32 v8, v9, v8, s13
                                        ; implicit-def: $vgpr9
; %bb.26:
	s_andn2_saveexec_b64 s[6:7], s[6:7]
; %bb.27:
	v_mov_b32_e32 v8, 0
	v_or_b32_e32 v10, 0x10000, v9
	v_cmp_eq_u32_sdwa vcc, v9, v8 src0_sel:WORD_0 src1_sel:DWORD
	v_cndmask_b32_e32 v8, v10, v9, vcc
; %bb.28:
	s_or_b64 exec, exec, s[6:7]
	v_mov_b32_e32 v9, s10
	v_add_co_u32_e32 v6, vcc, s3, v6
	v_addc_co_u32_e32 v7, vcc, v9, v7, vcc
	s_mov_b64 s[6:7], 0
	global_store_short_d16_hi v[6:7], v8, off offset:2
.LBB0_29:
	s_and_b64 vcc, exec, s[6:7]
	s_cbranch_vccz .LBB0_31
; %bb.30:
	global_load_dword v8, v[4:5], off offset:4
	v_mov_b32_e32 v7, s12
	v_add_co_u32_e32 v6, vcc, s11, v2
	v_addc_co_u32_e32 v7, vcc, v7, v3, vcc
	global_load_dword v9, v[6:7], off offset:4
	v_mov_b32_e32 v7, s9
	v_add_co_u32_e32 v6, vcc, s8, v2
	v_addc_co_u32_e32 v7, vcc, v7, v3, vcc
	v_mov_b32_e32 v10, s10
	s_waitcnt vmcnt(1)
	global_store_dword v[6:7], v8, off offset:4
	v_add_co_u32_e32 v6, vcc, s3, v2
	v_addc_co_u32_e32 v7, vcc, v10, v3, vcc
	s_waitcnt vmcnt(1)
	global_store_dword v[6:7], v9, off offset:4
.LBB0_31:
	s_or_b64 exec, exec, s[4:5]
	v_or_b32_e32 v6, 2, v0
	v_cmp_gt_i32_e32 vcc, s2, v6
	s_and_saveexec_b64 s[4:5], vcc
	s_cbranch_execz .LBB0_44
; %bb.32:
	s_and_b64 vcc, exec, s[0:1]
	s_mov_b64 s[6:7], -1
	s_cbranch_vccnz .LBB0_42
; %bb.33:
	global_load_dword v6, v[4:5], off offset:8
	s_mov_b32 s6, 0x7f800000
                                        ; implicit-def: $vgpr8
	s_waitcnt vmcnt(0)
	v_and_b32_e32 v7, 0x7f800000, v6
	v_cmp_ne_u32_e32 vcc, s6, v7
	s_and_saveexec_b64 s[6:7], vcc
	s_xor_b64 s[6:7], exec, s[6:7]
; %bb.34:
	v_bfe_u32 v7, v6, 16, 1
	s_movk_i32 s13, 0x7fff
	v_add3_u32 v8, v6, v7, s13
                                        ; implicit-def: $vgpr6
; %bb.35:
	s_andn2_saveexec_b64 s[6:7], s[6:7]
; %bb.36:
	v_mov_b32_e32 v7, 0
	v_or_b32_e32 v8, 0x10000, v6
	v_cmp_eq_u32_sdwa vcc, v6, v7 src0_sel:WORD_0 src1_sel:DWORD
	v_cndmask_b32_e32 v8, v8, v6, vcc
; %bb.37:
	s_or_b64 exec, exec, s[6:7]
	v_mov_b32_e32 v7, s12
	v_add_co_u32_e32 v6, vcc, s11, v2
	v_addc_co_u32_e32 v7, vcc, v7, v3, vcc
	global_load_dword v9, v[6:7], off offset:8
	v_lshlrev_b64 v[6:7], 1, v[0:1]
	v_mov_b32_e32 v11, s9
	v_add_co_u32_e32 v10, vcc, s8, v6
	v_addc_co_u32_e32 v11, vcc, v11, v7, vcc
	global_store_short_d16_hi v[10:11], v8, off offset:4
	s_mov_b32 s6, 0x7f800000
	s_waitcnt vmcnt(1)
	v_and_b32_e32 v8, 0x7f800000, v9
	v_cmp_ne_u32_e32 vcc, s6, v8
                                        ; implicit-def: $vgpr8
	s_and_saveexec_b64 s[6:7], vcc
	s_xor_b64 s[6:7], exec, s[6:7]
; %bb.38:
	v_bfe_u32 v8, v9, 16, 1
	s_movk_i32 s13, 0x7fff
	v_add3_u32 v8, v9, v8, s13
                                        ; implicit-def: $vgpr9
; %bb.39:
	s_andn2_saveexec_b64 s[6:7], s[6:7]
; %bb.40:
	v_mov_b32_e32 v8, 0
	v_or_b32_e32 v10, 0x10000, v9
	v_cmp_eq_u32_sdwa vcc, v9, v8 src0_sel:WORD_0 src1_sel:DWORD
	v_cndmask_b32_e32 v8, v10, v9, vcc
; %bb.41:
	s_or_b64 exec, exec, s[6:7]
	v_mov_b32_e32 v9, s10
	v_add_co_u32_e32 v6, vcc, s3, v6
	v_addc_co_u32_e32 v7, vcc, v9, v7, vcc
	s_mov_b64 s[6:7], 0
	global_store_short_d16_hi v[6:7], v8, off offset:4
.LBB0_42:
	s_and_b64 vcc, exec, s[6:7]
	s_cbranch_vccz .LBB0_44
; %bb.43:
	global_load_dword v8, v[4:5], off offset:8
	v_mov_b32_e32 v7, s12
	v_add_co_u32_e32 v6, vcc, s11, v2
	v_addc_co_u32_e32 v7, vcc, v7, v3, vcc
	global_load_dword v9, v[6:7], off offset:8
	v_mov_b32_e32 v7, s9
	v_add_co_u32_e32 v6, vcc, s8, v2
	v_addc_co_u32_e32 v7, vcc, v7, v3, vcc
	v_mov_b32_e32 v10, s10
	s_waitcnt vmcnt(1)
	global_store_dword v[6:7], v8, off offset:8
	v_add_co_u32_e32 v6, vcc, s3, v2
	v_addc_co_u32_e32 v7, vcc, v10, v3, vcc
	s_waitcnt vmcnt(1)
	global_store_dword v[6:7], v9, off offset:8
.LBB0_44:
	s_or_b64 exec, exec, s[4:5]
	v_or_b32_e32 v6, 3, v0
	v_cmp_gt_i32_e32 vcc, s2, v6
	s_and_b64 exec, exec, vcc
	s_cbranch_execz .LBB0_57
; %bb.45:
	s_and_b64 vcc, exec, s[0:1]
	s_mov_b64 s[0:1], -1
	s_cbranch_vccnz .LBB0_55
; %bb.46:
	global_load_dword v7, v[4:5], off offset:12
	s_mov_b32 s0, 0x7f800000
	s_waitcnt vmcnt(0)
	v_and_b32_e32 v6, 0x7f800000, v7
	v_cmp_ne_u32_e32 vcc, s0, v6
                                        ; implicit-def: $vgpr6
	s_and_saveexec_b64 s[0:1], vcc
	s_xor_b64 s[0:1], exec, s[0:1]
; %bb.47:
	v_bfe_u32 v6, v7, 16, 1
	s_movk_i32 s2, 0x7fff
	v_add3_u32 v6, v7, v6, s2
                                        ; implicit-def: $vgpr7
; %bb.48:
	s_andn2_saveexec_b64 s[0:1], s[0:1]
; %bb.49:
	v_mov_b32_e32 v6, 0
	v_or_b32_e32 v8, 0x10000, v7
	v_cmp_eq_u32_sdwa vcc, v7, v6 src0_sel:WORD_0 src1_sel:DWORD
	v_cndmask_b32_e32 v6, v8, v7, vcc
; %bb.50:
	s_or_b64 exec, exec, s[0:1]
	v_mov_b32_e32 v7, s12
	v_add_co_u32_e32 v8, vcc, s11, v2
	v_addc_co_u32_e32 v9, vcc, v7, v3, vcc
	global_load_dword v7, v[8:9], off offset:12
	v_lshlrev_b64 v[0:1], 1, v[0:1]
	v_mov_b32_e32 v9, s9
	v_add_co_u32_e32 v8, vcc, s8, v0
	v_addc_co_u32_e32 v9, vcc, v9, v1, vcc
	global_store_short_d16_hi v[8:9], v6, off offset:6
	s_mov_b32 s0, 0x7f800000
	s_waitcnt vmcnt(1)
	v_and_b32_e32 v6, 0x7f800000, v7
	v_cmp_ne_u32_e32 vcc, s0, v6
                                        ; implicit-def: $vgpr6
	s_and_saveexec_b64 s[0:1], vcc
	s_xor_b64 s[0:1], exec, s[0:1]
; %bb.51:
	v_bfe_u32 v6, v7, 16, 1
	s_movk_i32 s2, 0x7fff
	v_add3_u32 v6, v7, v6, s2
                                        ; implicit-def: $vgpr7
; %bb.52:
	s_andn2_saveexec_b64 s[0:1], s[0:1]
; %bb.53:
	v_mov_b32_e32 v6, 0
	v_or_b32_e32 v8, 0x10000, v7
	v_cmp_eq_u32_sdwa vcc, v7, v6 src0_sel:WORD_0 src1_sel:DWORD
	v_cndmask_b32_e32 v6, v8, v7, vcc
; %bb.54:
	s_or_b64 exec, exec, s[0:1]
	v_mov_b32_e32 v7, s10
	v_add_co_u32_e32 v0, vcc, s3, v0
	v_addc_co_u32_e32 v1, vcc, v7, v1, vcc
	s_mov_b64 s[0:1], 0
	global_store_short_d16_hi v[0:1], v6, off offset:6
.LBB0_55:
	s_and_b64 vcc, exec, s[0:1]
	s_cbranch_vccz .LBB0_57
; %bb.56:
	global_load_dword v4, v[4:5], off offset:12
	v_mov_b32_e32 v1, s12
	v_add_co_u32_e32 v0, vcc, s11, v2
	v_addc_co_u32_e32 v1, vcc, v1, v3, vcc
	global_load_dword v5, v[0:1], off offset:12
	v_mov_b32_e32 v1, s9
	v_add_co_u32_e32 v0, vcc, s8, v2
	v_addc_co_u32_e32 v1, vcc, v1, v3, vcc
	v_mov_b32_e32 v6, s10
	s_waitcnt vmcnt(1)
	global_store_dword v[0:1], v4, off offset:12
	v_add_co_u32_e32 v0, vcc, s3, v2
	v_addc_co_u32_e32 v1, vcc, v6, v3, vcc
	s_waitcnt vmcnt(1)
	global_store_dword v[0:1], v5, off offset:12
.LBB0_57:
	s_endpgm
	.section	.rodata,"a",@progbits
	.p2align	6, 0x0
	.amdhsa_kernel _Z16split_qkv_kernelILi4EEvPKfPfPvS3_iiiiiPKiiS5_xiiPKxS5_S5_
		.amdhsa_group_segment_fixed_size 0
		.amdhsa_private_segment_fixed_size 0
		.amdhsa_kernarg_size 376
		.amdhsa_user_sgpr_count 6
		.amdhsa_user_sgpr_private_segment_buffer 1
		.amdhsa_user_sgpr_dispatch_ptr 0
		.amdhsa_user_sgpr_queue_ptr 0
		.amdhsa_user_sgpr_kernarg_segment_ptr 1
		.amdhsa_user_sgpr_dispatch_id 0
		.amdhsa_user_sgpr_flat_scratch_init 0
		.amdhsa_user_sgpr_kernarg_preload_length 0
		.amdhsa_user_sgpr_kernarg_preload_offset 0
		.amdhsa_user_sgpr_private_segment_size 0
		.amdhsa_uses_dynamic_stack 0
		.amdhsa_system_sgpr_private_segment_wavefront_offset 0
		.amdhsa_system_sgpr_workgroup_id_x 1
		.amdhsa_system_sgpr_workgroup_id_y 1
		.amdhsa_system_sgpr_workgroup_id_z 0
		.amdhsa_system_sgpr_workgroup_info 0
		.amdhsa_system_vgpr_workitem_id 0
		.amdhsa_next_free_vgpr 12
		.amdhsa_next_free_sgpr 28
		.amdhsa_accum_offset 12
		.amdhsa_reserve_vcc 1
		.amdhsa_reserve_flat_scratch 0
		.amdhsa_float_round_mode_32 0
		.amdhsa_float_round_mode_16_64 0
		.amdhsa_float_denorm_mode_32 3
		.amdhsa_float_denorm_mode_16_64 3
		.amdhsa_dx10_clamp 1
		.amdhsa_ieee_mode 1
		.amdhsa_fp16_overflow 0
		.amdhsa_tg_split 0
		.amdhsa_exception_fp_ieee_invalid_op 0
		.amdhsa_exception_fp_denorm_src 0
		.amdhsa_exception_fp_ieee_div_zero 0
		.amdhsa_exception_fp_ieee_overflow 0
		.amdhsa_exception_fp_ieee_underflow 0
		.amdhsa_exception_fp_ieee_inexact 0
		.amdhsa_exception_int_div_zero 0
	.end_amdhsa_kernel
	.section	.text._Z16split_qkv_kernelILi4EEvPKfPfPvS3_iiiiiPKiiS5_xiiPKxS5_S5_,"axG",@progbits,_Z16split_qkv_kernelILi4EEvPKfPfPvS3_iiiiiPKiiS5_xiiPKxS5_S5_,comdat
.Lfunc_end0:
	.size	_Z16split_qkv_kernelILi4EEvPKfPfPvS3_iiiiiPKiiS5_xiiPKxS5_S5_, .Lfunc_end0-_Z16split_qkv_kernelILi4EEvPKfPfPvS3_iiiiiPKiiS5_xiiPKxS5_S5_
                                        ; -- End function
	.section	.AMDGPU.csdata,"",@progbits
; Kernel info:
; codeLenInByte = 2100
; NumSgprs: 32
; NumVgprs: 12
; NumAgprs: 0
; TotalNumVgprs: 12
; ScratchSize: 0
; MemoryBound: 0
; FloatMode: 240
; IeeeMode: 1
; LDSByteSize: 0 bytes/workgroup (compile time only)
; SGPRBlocks: 3
; VGPRBlocks: 1
; NumSGPRsForWavesPerEU: 32
; NumVGPRsForWavesPerEU: 12
; AccumOffset: 12
; Occupancy: 8
; WaveLimiterHint : 1
; COMPUTE_PGM_RSRC2:SCRATCH_EN: 0
; COMPUTE_PGM_RSRC2:USER_SGPR: 6
; COMPUTE_PGM_RSRC2:TRAP_HANDLER: 0
; COMPUTE_PGM_RSRC2:TGID_X_EN: 1
; COMPUTE_PGM_RSRC2:TGID_Y_EN: 1
; COMPUTE_PGM_RSRC2:TGID_Z_EN: 0
; COMPUTE_PGM_RSRC2:TIDIG_COMP_CNT: 0
; COMPUTE_PGM_RSRC3_GFX90A:ACCUM_OFFSET: 2
; COMPUTE_PGM_RSRC3_GFX90A:TG_SPLIT: 0
	.section	.text._Z16split_qkv_kernelILi1EEvPKfPfPvS3_iiiiiPKiiS5_xiiPKxS5_S5_,"axG",@progbits,_Z16split_qkv_kernelILi1EEvPKfPfPvS3_iiiiiPKiiS5_xiiPKxS5_S5_,comdat
	.protected	_Z16split_qkv_kernelILi1EEvPKfPfPvS3_iiiiiPKiiS5_xiiPKxS5_S5_ ; -- Begin function _Z16split_qkv_kernelILi1EEvPKfPfPvS3_iiiiiPKiiS5_xiiPKxS5_S5_
	.globl	_Z16split_qkv_kernelILi1EEvPKfPfPvS3_iiiiiPKiiS5_xiiPKxS5_S5_
	.p2align	8
	.type	_Z16split_qkv_kernelILi1EEvPKfPfPvS3_iiiiiPKiiS5_xiiPKxS5_S5_,@function
_Z16split_qkv_kernelILi1EEvPKfPfPvS3_iiiiiPKiiS5_xiiPKxS5_S5_: ; @_Z16split_qkv_kernelILi1EEvPKfPfPvS3_iiiiiPKiiS5_xiiPKxS5_S5_
; %bb.0:
	s_load_dwordx4 s[0:3], s[4:5], 0x20
	s_waitcnt lgkmcnt(0)
	s_cmp_ge_i32 s7, s0
	s_cbranch_scc1 .LBB1_18
; %bb.1:
	s_load_dwordx2 s[14:15], s[4:5], 0x0
	s_load_dword s12, s[4:5], 0x30
	s_load_dwordx2 s[18:19], s[4:5], 0x70
	s_load_dwordx4 s[20:23], s[4:5], 0x60
	s_load_dwordx2 s[24:25], s[4:5], 0x48
	s_load_dwordx2 s[26:27], s[4:5], 0x38
	s_load_dword s16, s[4:5], 0x84
	s_waitcnt lgkmcnt(0)
	s_ashr_i32 s13, s12, 31
	s_lshl_b64 s[8:9], s[12:13], 3
	s_add_u32 s8, s20, s8
	s_addc_u32 s9, s21, s9
	s_lshl_b64 s[12:13], s[12:13], 2
	s_add_u32 s20, s22, s12
	s_addc_u32 s21, s23, s13
	s_mov_b32 s10, s7
	s_add_u32 s12, s18, s12
	s_addc_u32 s13, s19, s13
	s_ashr_i32 s11, s10, 31
	s_load_dword s0, s[12:13], 0x0
	s_lshl_b64 s[12:13], s[10:11], 2
	s_add_u32 s18, s26, s12
	s_addc_u32 s19, s27, s13
	s_load_dword s7, s[20:21], 0x0
	s_load_dword s11, s[18:19], 0x0
	s_add_u32 s12, s24, s12
	s_addc_u32 s13, s25, s13
	s_waitcnt lgkmcnt(0)
	s_cmp_eq_u32 s0, 0
	s_cbranch_scc1 .LBB1_3
; %bb.2:
	s_abs_i32 s0, s7
	v_cvt_f32_u32_e32 v1, s0
	s_sub_i32 s18, 0, s0
	s_ashr_i32 s17, s11, 31
	s_abs_i32 s11, s11
	v_rcp_iflag_f32_e32 v1, v1
	v_mul_f32_e32 v1, 0x4f7ffffe, v1
	v_cvt_u32_f32_e32 v1, v1
	v_readfirstlane_b32 s19, v1
	s_mul_i32 s18, s18, s19
	s_mul_hi_u32 s18, s19, s18
	s_add_i32 s19, s19, s18
	s_mul_hi_u32 s18, s11, s19
	s_mul_i32 s18, s18, s0
	s_sub_i32 s11, s11, s18
	s_sub_i32 s18, s11, s0
	s_cmp_ge_u32 s11, s0
	s_cselect_b32 s11, s18, s11
	s_sub_i32 s18, s11, s0
	s_cmp_ge_u32 s11, s0
	s_cselect_b32 s0, s18, s11
	s_xor_b32 s0, s0, s17
	s_sub_i32 s11, s0, s17
.LBB1_3:
	s_lshl_b32 s3, s3, 1
	s_mul_i32 s0, s2, s1
	s_add_i32 s2, s3, s2
	s_mul_i32 s1, s2, s1
	s_and_b32 s2, 0xffff, s16
	s_mul_i32 s6, s6, s2
	s_mul_hi_i32 s3, s1, s10
	s_mul_i32 s2, s1, s10
	s_lshl_b64 s[2:3], s[2:3], 2
	v_add_u32_e32 v0, s6, v0
	s_add_u32 s6, s14, s2
	s_addc_u32 s14, s15, s3
	s_ashr_i32 s1, s0, 31
	v_cmp_gt_i32_e32 vcc, s0, v0
	v_ashrrev_i32_e32 v1, 31, v0
	s_and_saveexec_b64 s[2:3], vcc
	s_cbranch_execz .LBB1_5
; %bb.4:
	v_lshlrev_b64 v[2:3], 2, v[0:1]
	v_mov_b32_e32 v5, s14
	v_add_co_u32_e32 v4, vcc, s6, v2
	v_addc_co_u32_e32 v5, vcc, v5, v3, vcc
	global_load_dword v4, v[4:5], off
	s_load_dwordx2 s[16:17], s[4:5], 0x8
	s_mul_hi_i32 s19, s0, s10
	s_mul_i32 s18, s0, s10
	s_lshl_b64 s[18:19], s[18:19], 2
	s_waitcnt lgkmcnt(0)
	s_add_u32 s10, s16, s18
	s_addc_u32 s15, s17, s19
	v_mov_b32_e32 v5, s15
	v_add_co_u32_e32 v2, vcc, s10, v2
	v_addc_co_u32_e32 v3, vcc, v5, v3, vcc
	s_waitcnt vmcnt(0)
	global_store_dword v[2:3], v4, off
.LBB1_5:
	s_or_b64 exec, exec, s[2:3]
	s_load_dwordx2 s[2:3], s[4:5], 0x58
	s_waitcnt lgkmcnt(0)
	v_cmp_gt_i32_e32 vcc, s2, v0
	s_and_saveexec_b64 s[16:17], vcc
	s_cbranch_execz .LBB1_18
; %bb.6:
	s_load_dword s10, s[12:13], 0x0
	s_load_dwordx4 s[16:19], s[4:5], 0x10
	s_load_dwordx2 s[20:21], s[8:9], 0x0
	s_ashr_i32 s9, s2, 31
	s_ashr_i32 s5, s11, 31
	s_waitcnt lgkmcnt(0)
	s_mul_hi_i32 s4, s10, s7
	s_mul_i32 s10, s10, s7
	s_add_u32 s7, s10, s11
	s_addc_u32 s4, s4, s5
	s_mul_i32 s5, s7, s9
	s_mul_hi_u32 s10, s7, s2
	s_add_i32 s5, s10, s5
	s_mul_i32 s4, s4, s2
	s_add_i32 s5, s5, s4
	s_mul_i32 s7, s7, s2
	s_add_u32 s4, s7, s20
	s_addc_u32 s5, s5, s21
	s_cmp_eq_u32 s3, 0
	s_mov_b32 s8, s2
	s_cselect_b64 s[2:3], -1, 0
	s_and_b64 vcc, s[2:3], exec
	s_cselect_b32 s2, 2, 1
	s_lshl_b64 s[10:11], s[4:5], s2
	s_add_u32 s3, s16, s10
	s_addc_u32 s4, s17, s11
	s_add_u32 s2, s18, s10
	s_addc_u32 s5, s19, s11
	s_lshl_b64 s[0:1], s[0:1], 2
	s_add_u32 s10, s6, s0
	s_addc_u32 s11, s14, s1
	s_lshl_b64 s[0:1], s[8:9], 2
	s_add_u32 s6, s10, s0
	v_lshlrev_b64 v[2:3], 2, v[0:1]
	s_addc_u32 s7, s11, s1
	v_mov_b32_e32 v5, s11
	v_add_co_u32_e64 v4, s[0:1], s10, v2
	v_addc_co_u32_e64 v5, s[0:1], v5, v3, s[0:1]
	s_mov_b64 s[0:1], -1
	s_cbranch_vccnz .LBB1_16
; %bb.7:
	global_load_dword v7, v[4:5], off
	s_mov_b32 s0, 0x7f800000
	s_waitcnt vmcnt(0)
	v_and_b32_e32 v6, 0x7f800000, v7
	v_cmp_ne_u32_e32 vcc, s0, v6
                                        ; implicit-def: $vgpr6
	s_and_saveexec_b64 s[0:1], vcc
	s_xor_b64 s[0:1], exec, s[0:1]
; %bb.8:
	v_bfe_u32 v6, v7, 16, 1
	s_movk_i32 s8, 0x7fff
	v_add3_u32 v6, v7, v6, s8
                                        ; implicit-def: $vgpr7
; %bb.9:
	s_andn2_saveexec_b64 s[0:1], s[0:1]
; %bb.10:
	v_mov_b32_e32 v6, 0
	v_or_b32_e32 v8, 0x10000, v7
	v_cmp_eq_u32_sdwa vcc, v7, v6 src0_sel:WORD_0 src1_sel:DWORD
	v_cndmask_b32_e32 v6, v8, v7, vcc
; %bb.11:
	s_or_b64 exec, exec, s[0:1]
	v_mov_b32_e32 v7, s7
	v_add_co_u32_e32 v8, vcc, s6, v2
	v_addc_co_u32_e32 v9, vcc, v7, v3, vcc
	global_load_dword v7, v[8:9], off
	v_lshlrev_b64 v[0:1], 1, v[0:1]
	v_mov_b32_e32 v9, s4
	v_add_co_u32_e32 v8, vcc, s3, v0
	v_addc_co_u32_e32 v9, vcc, v9, v1, vcc
	global_store_short_d16_hi v[8:9], v6, off
	s_mov_b32 s0, 0x7f800000
	s_waitcnt vmcnt(1)
	v_and_b32_e32 v6, 0x7f800000, v7
	v_cmp_ne_u32_e32 vcc, s0, v6
                                        ; implicit-def: $vgpr6
	s_and_saveexec_b64 s[0:1], vcc
	s_xor_b64 s[0:1], exec, s[0:1]
; %bb.12:
	v_bfe_u32 v6, v7, 16, 1
	s_movk_i32 s8, 0x7fff
	v_add3_u32 v6, v7, v6, s8
                                        ; implicit-def: $vgpr7
; %bb.13:
	s_andn2_saveexec_b64 s[0:1], s[0:1]
; %bb.14:
	v_mov_b32_e32 v6, 0
	v_or_b32_e32 v8, 0x10000, v7
	v_cmp_eq_u32_sdwa vcc, v7, v6 src0_sel:WORD_0 src1_sel:DWORD
	v_cndmask_b32_e32 v6, v8, v7, vcc
; %bb.15:
	s_or_b64 exec, exec, s[0:1]
	v_mov_b32_e32 v7, s5
	v_add_co_u32_e32 v0, vcc, s2, v0
	v_addc_co_u32_e32 v1, vcc, v7, v1, vcc
	s_mov_b64 s[0:1], 0
	global_store_short_d16_hi v[0:1], v6, off
.LBB1_16:
	s_and_b64 vcc, exec, s[0:1]
	s_cbranch_vccz .LBB1_18
; %bb.17:
	global_load_dword v4, v[4:5], off
	v_mov_b32_e32 v1, s7
	v_add_co_u32_e32 v0, vcc, s6, v2
	v_addc_co_u32_e32 v1, vcc, v1, v3, vcc
	global_load_dword v5, v[0:1], off
	v_mov_b32_e32 v1, s4
	v_add_co_u32_e32 v0, vcc, s3, v2
	v_addc_co_u32_e32 v1, vcc, v1, v3, vcc
	v_mov_b32_e32 v6, s5
	s_waitcnt vmcnt(1)
	global_store_dword v[0:1], v4, off
	v_add_co_u32_e32 v0, vcc, s2, v2
	v_addc_co_u32_e32 v1, vcc, v6, v3, vcc
	s_waitcnt vmcnt(1)
	global_store_dword v[0:1], v5, off
.LBB1_18:
	s_endpgm
	.section	.rodata,"a",@progbits
	.p2align	6, 0x0
	.amdhsa_kernel _Z16split_qkv_kernelILi1EEvPKfPfPvS3_iiiiiPKiiS5_xiiPKxS5_S5_
		.amdhsa_group_segment_fixed_size 0
		.amdhsa_private_segment_fixed_size 0
		.amdhsa_kernarg_size 376
		.amdhsa_user_sgpr_count 6
		.amdhsa_user_sgpr_private_segment_buffer 1
		.amdhsa_user_sgpr_dispatch_ptr 0
		.amdhsa_user_sgpr_queue_ptr 0
		.amdhsa_user_sgpr_kernarg_segment_ptr 1
		.amdhsa_user_sgpr_dispatch_id 0
		.amdhsa_user_sgpr_flat_scratch_init 0
		.amdhsa_user_sgpr_kernarg_preload_length 0
		.amdhsa_user_sgpr_kernarg_preload_offset 0
		.amdhsa_user_sgpr_private_segment_size 0
		.amdhsa_uses_dynamic_stack 0
		.amdhsa_system_sgpr_private_segment_wavefront_offset 0
		.amdhsa_system_sgpr_workgroup_id_x 1
		.amdhsa_system_sgpr_workgroup_id_y 1
		.amdhsa_system_sgpr_workgroup_id_z 0
		.amdhsa_system_sgpr_workgroup_info 0
		.amdhsa_system_vgpr_workitem_id 0
		.amdhsa_next_free_vgpr 10
		.amdhsa_next_free_sgpr 28
		.amdhsa_accum_offset 12
		.amdhsa_reserve_vcc 1
		.amdhsa_reserve_flat_scratch 0
		.amdhsa_float_round_mode_32 0
		.amdhsa_float_round_mode_16_64 0
		.amdhsa_float_denorm_mode_32 3
		.amdhsa_float_denorm_mode_16_64 3
		.amdhsa_dx10_clamp 1
		.amdhsa_ieee_mode 1
		.amdhsa_fp16_overflow 0
		.amdhsa_tg_split 0
		.amdhsa_exception_fp_ieee_invalid_op 0
		.amdhsa_exception_fp_denorm_src 0
		.amdhsa_exception_fp_ieee_div_zero 0
		.amdhsa_exception_fp_ieee_overflow 0
		.amdhsa_exception_fp_ieee_underflow 0
		.amdhsa_exception_fp_ieee_inexact 0
		.amdhsa_exception_int_div_zero 0
	.end_amdhsa_kernel
	.section	.text._Z16split_qkv_kernelILi1EEvPKfPfPvS3_iiiiiPKiiS5_xiiPKxS5_S5_,"axG",@progbits,_Z16split_qkv_kernelILi1EEvPKfPfPvS3_iiiiiPKiiS5_xiiPKxS5_S5_,comdat
.Lfunc_end1:
	.size	_Z16split_qkv_kernelILi1EEvPKfPfPvS3_iiiiiPKiiS5_xiiPKxS5_S5_, .Lfunc_end1-_Z16split_qkv_kernelILi1EEvPKfPfPvS3_iiiiiPKiiS5_xiiPKxS5_S5_
                                        ; -- End function
	.section	.AMDGPU.csdata,"",@progbits
; Kernel info:
; codeLenInByte = 980
; NumSgprs: 32
; NumVgprs: 10
; NumAgprs: 0
; TotalNumVgprs: 10
; ScratchSize: 0
; MemoryBound: 0
; FloatMode: 240
; IeeeMode: 1
; LDSByteSize: 0 bytes/workgroup (compile time only)
; SGPRBlocks: 3
; VGPRBlocks: 1
; NumSGPRsForWavesPerEU: 32
; NumVGPRsForWavesPerEU: 10
; AccumOffset: 12
; Occupancy: 8
; WaveLimiterHint : 1
; COMPUTE_PGM_RSRC2:SCRATCH_EN: 0
; COMPUTE_PGM_RSRC2:USER_SGPR: 6
; COMPUTE_PGM_RSRC2:TRAP_HANDLER: 0
; COMPUTE_PGM_RSRC2:TGID_X_EN: 1
; COMPUTE_PGM_RSRC2:TGID_Y_EN: 1
; COMPUTE_PGM_RSRC2:TGID_Z_EN: 0
; COMPUTE_PGM_RSRC2:TIDIG_COMP_CNT: 0
; COMPUTE_PGM_RSRC3_GFX90A:ACCUM_OFFSET: 2
; COMPUTE_PGM_RSRC3_GFX90A:TG_SPLIT: 0
	.text
	.p2alignl 6, 3212836864
	.fill 256, 4, 3212836864
	.type	__hip_cuid_58e7fed7331d6343,@object ; @__hip_cuid_58e7fed7331d6343
	.section	.bss,"aw",@nobits
	.globl	__hip_cuid_58e7fed7331d6343
__hip_cuid_58e7fed7331d6343:
	.byte	0                               ; 0x0
	.size	__hip_cuid_58e7fed7331d6343, 1

	.ident	"AMD clang version 19.0.0git (https://github.com/RadeonOpenCompute/llvm-project roc-6.4.0 25133 c7fe45cf4b819c5991fe208aaa96edf142730f1d)"
	.section	".note.GNU-stack","",@progbits
	.addrsig
	.addrsig_sym __hip_cuid_58e7fed7331d6343
	.amdgpu_metadata
---
amdhsa.kernels:
  - .agpr_count:     0
    .args:
      - .actual_access:  read_only
        .address_space:  global
        .offset:         0
        .size:           8
        .value_kind:     global_buffer
      - .actual_access:  write_only
        .address_space:  global
        .offset:         8
        .size:           8
        .value_kind:     global_buffer
      - .actual_access:  write_only
        .address_space:  global
        .offset:         16
        .size:           8
        .value_kind:     global_buffer
      - .actual_access:  write_only
        .address_space:  global
        .offset:         24
        .size:           8
        .value_kind:     global_buffer
      - .offset:         32
        .size:           4
        .value_kind:     by_value
      - .offset:         36
        .size:           4
        .value_kind:     by_value
      - .offset:         40
        .size:           4
        .value_kind:     by_value
      - .offset:         44
        .size:           4
        .value_kind:     by_value
      - .offset:         48
        .size:           4
        .value_kind:     by_value
      - .actual_access:  read_only
        .address_space:  global
        .offset:         56
        .size:           8
        .value_kind:     global_buffer
      - .offset:         64
        .size:           4
        .value_kind:     by_value
      - .actual_access:  read_only
        .address_space:  global
        .offset:         72
        .size:           8
        .value_kind:     global_buffer
      - .offset:         80
        .size:           8
        .value_kind:     by_value
      - .offset:         88
        .size:           4
        .value_kind:     by_value
      - .offset:         92
        .size:           4
        .value_kind:     by_value
      - .actual_access:  read_only
        .address_space:  global
        .offset:         96
        .size:           8
        .value_kind:     global_buffer
      - .actual_access:  read_only
        .address_space:  global
        .offset:         104
        .size:           8
        .value_kind:     global_buffer
      - .actual_access:  read_only
        .address_space:  global
        .offset:         112
        .size:           8
        .value_kind:     global_buffer
      - .offset:         120
        .size:           4
        .value_kind:     hidden_block_count_x
      - .offset:         124
        .size:           4
        .value_kind:     hidden_block_count_y
      - .offset:         128
        .size:           4
        .value_kind:     hidden_block_count_z
      - .offset:         132
        .size:           2
        .value_kind:     hidden_group_size_x
      - .offset:         134
        .size:           2
        .value_kind:     hidden_group_size_y
      - .offset:         136
        .size:           2
        .value_kind:     hidden_group_size_z
      - .offset:         138
        .size:           2
        .value_kind:     hidden_remainder_x
      - .offset:         140
        .size:           2
        .value_kind:     hidden_remainder_y
      - .offset:         142
        .size:           2
        .value_kind:     hidden_remainder_z
      - .offset:         160
        .size:           8
        .value_kind:     hidden_global_offset_x
      - .offset:         168
        .size:           8
        .value_kind:     hidden_global_offset_y
      - .offset:         176
        .size:           8
        .value_kind:     hidden_global_offset_z
      - .offset:         184
        .size:           2
        .value_kind:     hidden_grid_dims
    .group_segment_fixed_size: 0
    .kernarg_segment_align: 8
    .kernarg_segment_size: 376
    .language:       OpenCL C
    .language_version:
      - 2
      - 0
    .max_flat_workgroup_size: 1024
    .name:           _Z16split_qkv_kernelILi4EEvPKfPfPvS3_iiiiiPKiiS5_xiiPKxS5_S5_
    .private_segment_fixed_size: 0
    .sgpr_count:     32
    .sgpr_spill_count: 0
    .symbol:         _Z16split_qkv_kernelILi4EEvPKfPfPvS3_iiiiiPKiiS5_xiiPKxS5_S5_.kd
    .uniform_work_group_size: 1
    .uses_dynamic_stack: false
    .vgpr_count:     12
    .vgpr_spill_count: 0
    .wavefront_size: 64
  - .agpr_count:     0
    .args:
      - .actual_access:  read_only
        .address_space:  global
        .offset:         0
        .size:           8
        .value_kind:     global_buffer
      - .actual_access:  write_only
        .address_space:  global
        .offset:         8
        .size:           8
        .value_kind:     global_buffer
      - .actual_access:  write_only
        .address_space:  global
        .offset:         16
        .size:           8
        .value_kind:     global_buffer
      - .actual_access:  write_only
        .address_space:  global
        .offset:         24
        .size:           8
        .value_kind:     global_buffer
      - .offset:         32
        .size:           4
        .value_kind:     by_value
      - .offset:         36
        .size:           4
        .value_kind:     by_value
      - .offset:         40
        .size:           4
        .value_kind:     by_value
      - .offset:         44
        .size:           4
        .value_kind:     by_value
      - .offset:         48
        .size:           4
        .value_kind:     by_value
      - .actual_access:  read_only
        .address_space:  global
        .offset:         56
        .size:           8
        .value_kind:     global_buffer
      - .offset:         64
        .size:           4
        .value_kind:     by_value
      - .actual_access:  read_only
        .address_space:  global
        .offset:         72
        .size:           8
        .value_kind:     global_buffer
      - .offset:         80
        .size:           8
        .value_kind:     by_value
      - .offset:         88
        .size:           4
        .value_kind:     by_value
      - .offset:         92
        .size:           4
        .value_kind:     by_value
      - .actual_access:  read_only
        .address_space:  global
        .offset:         96
        .size:           8
        .value_kind:     global_buffer
      - .actual_access:  read_only
        .address_space:  global
        .offset:         104
        .size:           8
        .value_kind:     global_buffer
      - .actual_access:  read_only
        .address_space:  global
        .offset:         112
        .size:           8
        .value_kind:     global_buffer
      - .offset:         120
        .size:           4
        .value_kind:     hidden_block_count_x
      - .offset:         124
        .size:           4
        .value_kind:     hidden_block_count_y
      - .offset:         128
        .size:           4
        .value_kind:     hidden_block_count_z
      - .offset:         132
        .size:           2
        .value_kind:     hidden_group_size_x
      - .offset:         134
        .size:           2
        .value_kind:     hidden_group_size_y
      - .offset:         136
        .size:           2
        .value_kind:     hidden_group_size_z
      - .offset:         138
        .size:           2
        .value_kind:     hidden_remainder_x
      - .offset:         140
        .size:           2
        .value_kind:     hidden_remainder_y
      - .offset:         142
        .size:           2
        .value_kind:     hidden_remainder_z
      - .offset:         160
        .size:           8
        .value_kind:     hidden_global_offset_x
      - .offset:         168
        .size:           8
        .value_kind:     hidden_global_offset_y
      - .offset:         176
        .size:           8
        .value_kind:     hidden_global_offset_z
      - .offset:         184
        .size:           2
        .value_kind:     hidden_grid_dims
    .group_segment_fixed_size: 0
    .kernarg_segment_align: 8
    .kernarg_segment_size: 376
    .language:       OpenCL C
    .language_version:
      - 2
      - 0
    .max_flat_workgroup_size: 1024
    .name:           _Z16split_qkv_kernelILi1EEvPKfPfPvS3_iiiiiPKiiS5_xiiPKxS5_S5_
    .private_segment_fixed_size: 0
    .sgpr_count:     32
    .sgpr_spill_count: 0
    .symbol:         _Z16split_qkv_kernelILi1EEvPKfPfPvS3_iiiiiPKiiS5_xiiPKxS5_S5_.kd
    .uniform_work_group_size: 1
    .uses_dynamic_stack: false
    .vgpr_count:     10
    .vgpr_spill_count: 0
    .wavefront_size: 64
amdhsa.target:   amdgcn-amd-amdhsa--gfx90a
amdhsa.version:
  - 1
  - 2
...

	.end_amdgpu_metadata
